;; amdgpu-corpus repo=zjin-lcf/HeCBench kind=compiled arch=gfx90a opt=O3
	.text
	.amdgcn_target "amdgcn-amd-amdhsa--gfx90a"
	.amdhsa_code_object_version 6
	.protected	_Z15nbnxmKernelTestPK15HIP_vector_typeIfLj4EEPN3gmx11BasicVectorIfEES6_S6_P11nbnxn_cj4_tPK9nbnxn_sciPK12nbnxn_excl_tPKiPKS_IfLj2EEifffb ; -- Begin function _Z15nbnxmKernelTestPK15HIP_vector_typeIfLj4EEPN3gmx11BasicVectorIfEES6_S6_P11nbnxn_cj4_tPK9nbnxn_sciPK12nbnxn_excl_tPKiPKS_IfLj2EEifffb
	.globl	_Z15nbnxmKernelTestPK15HIP_vector_typeIfLj4EEPN3gmx11BasicVectorIfEES6_S6_P11nbnxn_cj4_tPK9nbnxn_sciPK12nbnxn_excl_tPKiPKS_IfLj2EEifffb
	.p2align	8
	.type	_Z15nbnxmKernelTestPK15HIP_vector_typeIfLj4EEPN3gmx11BasicVectorIfEES6_S6_P11nbnxn_cj4_tPK9nbnxn_sciPK12nbnxn_excl_tPKiPKS_IfLj2EEifffb,@function
_Z15nbnxmKernelTestPK15HIP_vector_typeIfLj4EEPN3gmx11BasicVectorIfEES6_S6_P11nbnxn_cj4_tPK9nbnxn_sciPK12nbnxn_excl_tPKiPKS_IfLj2EEifffb: ; @_Z15nbnxmKernelTestPK15HIP_vector_typeIfLj4EEPN3gmx11BasicVectorIfEES6_S6_P11nbnxn_cj4_tPK9nbnxn_sciPK12nbnxn_excl_tPKiPKS_IfLj2EEifffb
; %bb.0:
	s_load_dwordx2 s[2:3], s[4:5], 0x28
	s_load_dwordx2 s[34:35], s[4:5], 0x38
	s_mov_b32 s16, 0
	s_mov_b32 s0, s7
	;; [unrolled: 1-line block ×3, first 2 shown]
	s_lshl_b64 s[0:1], s[0:1], 4
	s_waitcnt lgkmcnt(0)
	s_add_u32 s0, s2, s0
	s_addc_u32 s1, s3, s1
	s_load_dwordx4 s[24:27], s[0:1], 0x0
	s_load_dwordx8 s[8:15], s[4:5], 0x0
	v_and_b32_e32 v40, 0x3ff, v0
	v_bfe_u32 v39, v0, 10, 10
	v_lshl_add_u32 v41, v39, 3, v40
	s_waitcnt lgkmcnt(0)
	s_lshl_b32 s47, s24, 6
	v_add_u32_e32 v0, s47, v41
	v_ashrrev_i32_e32 v1, 31, v0
	v_lshlrev_b64 v[2:3], 4, v[0:1]
	v_mov_b32_e32 v4, s9
	v_add_co_u32_e32 v2, vcc, s8, v2
	v_addc_co_u32_e32 v3, vcc, v4, v3, vcc
	global_load_dwordx4 v[16:19], v[2:3], off
	v_lshlrev_b64 v[0:1], 2, v[0:1]
	v_mov_b32_e32 v2, s35
	v_add_co_u32_e32 v0, vcc, s34, v0
	v_addc_co_u32_e32 v1, vcc, v2, v1, vcc
	global_load_dword v20, v[0:1], off
	s_mul_i32 s46, s25, 12
	s_mul_hi_i32 s33, s25, 12
	s_add_u32 s0, s12, s46
	s_addc_u32 s1, s13, s33
	s_load_dword s48, s[4:5], 0x58
	s_load_dwordx4 s[28:31], s[4:5], 0x48
	s_load_dwordx2 s[2:3], s[0:1], 0x0
	s_load_dword s6, s[0:1], 0x8
	s_mov_b32 s17, s16
	s_mov_b32 s18, s16
	;; [unrolled: 1-line block ×7, first 2 shown]
	v_pk_mov_b32 v[0:1], s[16:17], s[16:17] op_sel:[0,1]
	v_lshlrev_b32_e32 v21, 4, v41
	v_pk_mov_b32 v[6:7], s[22:23], s[22:23] op_sel:[0,1]
	v_mad_i32_i24 v22, v41, -12, v21
	v_pk_mov_b32 v[2:3], s[18:19], s[18:19] op_sel:[0,1]
	v_pk_mov_b32 v[4:5], s[20:21], s[20:21] op_sel:[0,1]
	;; [unrolled: 1-line block ×3, first 2 shown]
	s_cmp_lg_u32 s25, 22
	v_pk_mov_b32 v[12:13], v[4:5], v[4:5] op_sel:[0,1]
	v_pk_mov_b32 v[10:11], v[2:3], v[2:3] op_sel:[0,1]
	;; [unrolled: 1-line block ×3, first 2 shown]
	s_cselect_b64 s[12:13], -1, 0
	s_cmp_ge_i32 s26, s27
	s_waitcnt vmcnt(1)
	v_add_f32_e32 v19, 0, v19
	s_waitcnt lgkmcnt(0)
	v_add_f32_e32 v18, s6, v18
	v_pk_add_f32 v[16:17], s[2:3], v[16:17]
	v_mul_f32_e32 v19, s31, v19
	ds_write_b128 v21, v[16:19]
	s_waitcnt vmcnt(0)
	ds_write_b32 v22, v20 offset:1792
	v_pk_mov_b32 v[22:23], v[6:7], v[6:7] op_sel:[0,1]
	v_pk_mov_b32 v[20:21], v[4:5], v[4:5] op_sel:[0,1]
	;; [unrolled: 1-line block ×4, first 2 shown]
	s_waitcnt lgkmcnt(0)
	s_barrier
	s_cbranch_scc1 .LBB0_60
; %bb.1:
	s_load_dwordx2 s[36:37], s[4:5], 0x20
	s_load_dwordx2 s[38:39], s[4:5], 0x40
	s_load_dwordx2 s[2:3], s[4:5], 0x30
	v_and_b32_e32 v0, 31, v41
	v_lshlrev_b32_e32 v0, 2, v0
	v_lshrrev_b32_e32 v8, 5, v41
	v_lshlrev_b32_e32 v46, 4, v40
	s_waitcnt lgkmcnt(0)
	v_add_co_u32_e32 v44, vcc, s2, v0
	v_and_b32_e32 v0, 1, v40
	v_mov_b32_e32 v1, s3
	v_cmp_eq_u32_e64 s[2:3], 0, v0
	v_and_b32_e32 v0, 2, v40
	v_addc_co_u32_e32 v45, vcc, 0, v1, vcc
	v_cmp_eq_u32_e64 s[4:5], 0, v0
	v_lshlrev_b32_e32 v0, 2, v40
	v_mov_b32_e32 v1, s11
	v_add_co_u32_e32 v32, vcc, s10, v0
	v_addc_co_u32_e32 v33, vcc, 0, v1, vcc
	v_add_u32_e32 v48, 0x700, v0
	v_pk_mov_b32 v[0:1], s[16:17], s[16:17] op_sel:[0,1]
	v_mad_i32_i24 v47, v40, -12, v46
	v_mul_u32_u24_e32 v9, 12, v40
	v_pk_mov_b32 v[6:7], s[22:23], s[22:23] op_sel:[0,1]
	v_lshlrev_b32_e32 v49, 3, v8
	v_mbcnt_lo_u32_b32 v8, -1, 0
	v_mul_f32_e64 v42, s30, s30
	s_lshl_b32 s49, s24, 3
	v_pk_mov_b32 v[2:3], s[18:19], s[18:19] op_sel:[0,1]
	v_pk_mov_b32 v[4:5], s[20:21], s[20:21] op_sel:[0,1]
	v_add_u32_e32 v53, v47, v9
	v_mbcnt_hi_u32_b32 v54, -1, v8
	v_pk_mov_b32 v[14:15], v[6:7], v[6:7] op_sel:[0,1]
	v_pk_mov_b32 v[22:23], v[6:7], v[6:7] op_sel:[0,1]
	v_mul_f32_e32 v43, s30, v42
	v_cmp_gt_u32_e64 s[0:1], v39, v40
	v_cmp_gt_u32_e64 s[6:7], 3, v40
	s_or_b32 s50, s49, 1
	s_or_b32 s51, s49, 2
	;; [unrolled: 1-line block ×7, first 2 shown]
	v_mov_b32_e32 v50, 0xbc9ded90
	v_mov_b32_e32 v51, 0x3d8eaf3b
	;; [unrolled: 1-line block ×3, first 2 shown]
	s_mov_b32 s18, s26
	v_pk_mov_b32 v[12:13], v[4:5], v[4:5] op_sel:[0,1]
	v_pk_mov_b32 v[10:11], v[2:3], v[2:3] op_sel:[0,1]
	;; [unrolled: 1-line block ×6, first 2 shown]
	s_branch .LBB0_3
.LBB0_2:                                ;   in Loop: Header=BB0_3 Depth=1
	s_or_b64 exec, exec, s[22:23]
	s_add_i32 s18, s18, 1
	s_cmp_ge_i32 s18, s27
	s_cbranch_scc1 .LBB0_60
.LBB0_3:                                ; =>This Loop Header: Depth=1
                                        ;     Child Loop BB0_7 Depth 2
                                        ;       Child Loop BB0_58 Depth 3
	s_ashr_i32 s19, s18, 31
	s_lshl_b64 s[20:21], s[18:19], 5
	s_add_u32 s20, s36, s20
	s_addc_u32 s21, s37, s21
	global_load_dword v55, v49, s[20:21] offset:16
	s_waitcnt vmcnt(0)
	v_cmp_ne_u32_e32 vcc, 0, v55
	s_and_saveexec_b64 s[22:23], vcc
	s_cbranch_execz .LBB0_2
; %bb.4:                                ;   in Loop: Header=BB0_3 Depth=1
	v_mov_b32_e32 v25, s21
	v_add_co_u32_e32 v24, vcc, s20, v49
	v_addc_co_u32_e32 v25, vcc, 0, v25, vcc
	global_load_dword v24, v[24:25], off offset:20
	s_mov_b32 s24, 0
	s_waitcnt vmcnt(0)
	v_ashrrev_i32_e32 v25, 31, v24
	v_lshlrev_b64 v[24:25], 7, v[24:25]
	v_add_co_u32_e32 v24, vcc, v44, v24
	v_addc_co_u32_e32 v25, vcc, v45, v25, vcc
	global_load_dword v56, v[24:25], off
	s_branch .LBB0_7
.LBB0_5:                                ;   in Loop: Header=BB0_7 Depth=2
	s_or_b64 exec, exec, s[40:41]
.LBB0_6:                                ;   in Loop: Header=BB0_7 Depth=2
	s_or_b64 exec, exec, s[30:31]
	s_add_i32 s24, s24, 1
	s_cmp_lg_u32 s24, 4
	s_cbranch_scc0 .LBB0_2
.LBB0_7:                                ;   Parent Loop BB0_3 Depth=1
                                        ; =>  This Loop Header: Depth=2
                                        ;       Child Loop BB0_58 Depth 3
	s_lshl_b32 s26, s24, 3
	v_bfe_u32 v24, v55, s26, 8
	v_cmp_ne_u32_e32 vcc, 0, v24
	s_and_saveexec_b64 s[30:31], vcc
	s_cbranch_execz .LBB0_6
; %bb.8:                                ;   in Loop: Header=BB0_7 Depth=2
	s_mov_b32 s25, s16
	s_lshl_b32 s57, 1, s26
	s_lshl_b64 s[40:41], s[24:25], 2
	s_add_u32 s40, s20, s40
	s_addc_u32 s41, s21, s41
	s_load_dword s19, s[40:41], 0x0
	v_mov_b32_e32 v26, s9
	v_mov_b32_e32 v30, s35
	s_mov_b32 s17, s16
	v_pk_mov_b32 v[36:37], s[16:17], s[16:17] op_sel:[0,1]
	s_waitcnt lgkmcnt(0)
	v_lshl_add_u32 v34, s19, 3, v39
	v_ashrrev_i32_e32 v35, 31, v34
	v_lshlrev_b64 v[24:25], 4, v[34:35]
	v_add_co_u32_e32 v24, vcc, s8, v24
	v_addc_co_u32_e32 v25, vcc, v26, v25, vcc
	v_lshlrev_b64 v[28:29], 2, v[34:35]
	v_add_co_u32_e32 v28, vcc, s34, v28
	v_addc_co_u32_e32 v29, vcc, v30, v29, vcc
	global_load_dwordx4 v[24:27], v[24:25], off
	v_mov_b32_e32 v35, 0
	global_load_dword v38, v[28:29], off
	v_and_b32_e32 v28, s57, v55
	v_cmp_ne_u32_e32 vcc, 0, v28
	s_and_saveexec_b64 s[40:41], vcc
	s_cbranch_execz .LBB0_14
; %bb.9:                                ;   in Loop: Header=BB0_7 Depth=2
	ds_read_b128 v[28:31], v46
	v_pk_mov_b32 v[36:37], s[16:17], s[16:17] op_sel:[0,1]
	v_mov_b32_e32 v35, 0
	s_waitcnt vmcnt(1) lgkmcnt(0)
	v_pk_add_f32 v[28:29], v[28:29], v[24:25] neg_lo:[0,1] neg_hi:[0,1]
	v_pk_mul_f32 v[58:59], v[28:29], v[28:29]
	v_sub_f32_e32 v30, v30, v26
	v_add_f32_e32 v57, v58, v59
	v_fmac_f32_e32 v57, v30, v30
	v_cmp_gt_f32_e32 vcc, s29, v57
	s_and_saveexec_b64 s[42:43], vcc
	s_cbranch_execz .LBB0_13
; %bb.10:                               ;   in Loop: Header=BB0_7 Depth=2
	s_cmp_lg_u32 s49, s19
	s_cselect_b64 s[44:45], -1, 0
	s_or_b64 s[44:45], s[0:1], s[44:45]
	s_mov_b32 s17, s16
	s_or_b64 s[58:59], s[12:13], s[44:45]
	v_pk_mov_b32 v[36:37], s[16:17], s[16:17] op_sel:[0,1]
	v_mov_b32_e32 v35, 0
	s_and_saveexec_b64 s[44:45], s[58:59]
	s_cbranch_execz .LBB0_12
; %bb.11:                               ;   in Loop: Header=BB0_7 Depth=2
	ds_read_b32 v35, v47 offset:1792
	v_mov_b32_e32 v58, s39
	v_max_f32_e32 v57, v57, v57
	v_max_f32_e32 v57, 0x34cd15ae, v57
	v_rsq_f32_e32 v62, v57
	s_waitcnt vmcnt(0) lgkmcnt(0)
	v_mad_u64_u32 v[36:37], s[58:59], v35, s28, v[38:39]
	v_ashrrev_i32_e32 v37, 31, v36
	v_lshlrev_b64 v[36:37], 3, v[36:37]
	v_add_co_u32_e32 v36, vcc, s38, v36
	v_addc_co_u32_e32 v37, vcc, v58, v37, vcc
	global_load_dwordx2 v[36:37], v[36:37], off
	v_mul_f32_e32 v57, v42, v57
	v_mov_b32_e32 v58, 0x3ded3cb2
	v_mul_f32_e32 v63, v57, v57
	v_mov_b32_e32 v59, 0x3f01e2bc
	v_fmac_f32_e32 v58, 0x3a92b707, v63
	v_fmac_f32_e32 v59, 0x3c739487, v63
	v_fma_f32 v58, v63, v58, 1.0
	v_fmac_f32_e32 v58, v57, v59
	v_mov_b32_e32 v60, 0xb85ffb93
	v_div_scale_f32 v65, s[58:59], v58, v58, 1.0
	v_mov_b32_e32 v61, 0x3a83ca0c
	v_fmac_f32_e32 v60, 0xb2951928, v63
	v_rcp_f32_e32 v67, v65
	v_and_b32_e32 v35, s57, v56
	v_fmac_f32_e32 v61, 0x35c55945, v63
	v_fma_f32 v60, v63, v60, v50
	v_mul_f32_e32 v64, v62, v62
	v_cmp_eq_u32_e32 vcc, 0, v35
	v_fma_f32 v61, v63, v61, v51
	v_fma_f32 v59, v63, v60, v52
	v_mul_f32_e32 v60, v64, v64
	v_cndmask_b32_e64 v35, 1.0, 0, vcc
	v_fmac_f32_e32 v59, v57, v61
	v_mul_f32_e32 v57, v64, v60
	v_mul_f32_e32 v63, v35, v64
	;; [unrolled: 1-line block ×3, first 2 shown]
	v_fma_f32 v57, -v65, v67, 1.0
	v_div_scale_f32 v66, vcc, 1.0, v58, 1.0
	v_fmac_f32_e32 v67, v57, v67
	v_mul_f32_e32 v57, v66, v67
	v_fma_f32 v60, -v65, v57, v66
	v_fmac_f32_e32 v57, v60, v67
	v_fma_f32 v60, -v65, v57, v66
	v_div_fmas_f32 v57, v60, v67, v57
	v_div_fixup_f32 v57, v57, v58, 1.0
	v_mul_f32_e32 v57, v57, v59
	v_mul_f32_e32 v57, v43, v57
	;; [unrolled: 1-line block ×3, first 2 shown]
	v_fmac_f32_e32 v57, v62, v63
	s_waitcnt vmcnt(0)
	v_fma_f32 v36, v35, v37, -v36
	v_mul_f32_e32 v35, v35, v36
	v_mul_f32_e32 v58, v64, v35
	v_fmac_f32_e32 v58, v31, v57
	v_pk_mul_f32 v[60:61], v[28:29], v[58:59] op_sel_hi:[1,0]
	v_pk_fma_f32 v[36:37], v[28:29], v[58:59], 0 op_sel_hi:[1,0,0] neg_lo:[1,0,0] neg_hi:[1,0,0]
	v_fma_f32 v35, -v30, v58, 0
	v_add_f32_e32 v0, v0, v60
	v_add_f32_e32 v8, v8, v61
	v_fma_f32 v16, v30, v58, v16
.LBB0_12:                               ;   in Loop: Header=BB0_7 Depth=2
	s_or_b64 exec, exec, s[44:45]
.LBB0_13:                               ;   in Loop: Header=BB0_7 Depth=2
	s_or_b64 exec, exec, s[42:43]
.LBB0_14:                               ;   in Loop: Header=BB0_7 Depth=2
	s_or_b64 exec, exec, s[40:41]
	s_lshl_b32 s17, 2, s26
	v_and_b32_e32 v28, s17, v55
	v_cmp_ne_u32_e32 vcc, 0, v28
	s_and_saveexec_b64 s[40:41], vcc
	s_cbranch_execz .LBB0_20
; %bb.15:                               ;   in Loop: Header=BB0_7 Depth=2
	ds_read_b128 v[28:31], v53 offset:128
	s_waitcnt vmcnt(1) lgkmcnt(0)
	v_pk_add_f32 v[28:29], v[28:29], v[24:25] neg_lo:[0,1] neg_hi:[0,1]
	v_pk_mul_f32 v[58:59], v[28:29], v[28:29]
	v_sub_f32_e32 v30, v30, v26
	v_add_f32_e32 v57, v58, v59
	v_fmac_f32_e32 v57, v30, v30
	v_cmp_gt_f32_e32 vcc, s29, v57
	s_and_saveexec_b64 s[42:43], vcc
	s_cbranch_execz .LBB0_19
; %bb.16:                               ;   in Loop: Header=BB0_7 Depth=2
	s_cmp_lg_u32 s50, s19
	s_cselect_b64 s[44:45], -1, 0
	s_or_b64 s[44:45], s[0:1], s[44:45]
	s_or_b64 s[58:59], s[12:13], s[44:45]
	s_and_saveexec_b64 s[44:45], s[58:59]
	s_cbranch_execz .LBB0_18
; %bb.17:                               ;   in Loop: Header=BB0_7 Depth=2
	ds_read_b32 v58, v48 offset:32
	v_mov_b32_e32 v60, s39
	v_max_f32_e32 v57, v57, v57
	v_max_f32_e32 v57, 0x34cd15ae, v57
	v_rsq_f32_e32 v65, v57
	s_waitcnt vmcnt(0) lgkmcnt(0)
	v_mad_u64_u32 v[58:59], s[58:59], v58, s28, v[38:39]
	v_ashrrev_i32_e32 v59, 31, v58
	v_lshlrev_b64 v[58:59], 3, v[58:59]
	v_add_co_u32_e32 v58, vcc, s38, v58
	v_addc_co_u32_e32 v59, vcc, v60, v59, vcc
	global_load_dwordx2 v[58:59], v[58:59], off
	v_mul_f32_e32 v57, v42, v57
	v_mov_b32_e32 v61, 0x3ded3cb2
	v_mul_f32_e32 v66, v57, v57
	v_mov_b32_e32 v62, 0x3f01e2bc
	v_fmac_f32_e32 v61, 0x3a92b707, v66
	v_fmac_f32_e32 v62, 0x3c739487, v66
	v_fma_f32 v61, v66, v61, 1.0
	v_fmac_f32_e32 v61, v57, v62
	v_mov_b32_e32 v63, 0xb85ffb93
	v_div_scale_f32 v68, s[58:59], v61, v61, 1.0
	v_mov_b32_e32 v64, 0x3a83ca0c
	v_fmac_f32_e32 v63, 0xb2951928, v66
	v_rcp_f32_e32 v70, v68
	v_and_b32_e32 v60, s17, v56
	v_fmac_f32_e32 v64, 0x35c55945, v66
	v_fma_f32 v63, v66, v63, v50
	v_mul_f32_e32 v67, v65, v65
	v_cmp_eq_u32_e32 vcc, 0, v60
	v_fma_f32 v64, v66, v64, v51
	v_fma_f32 v62, v66, v63, v52
	v_mul_f32_e32 v63, v67, v67
	v_cndmask_b32_e64 v60, 1.0, 0, vcc
	v_fmac_f32_e32 v62, v57, v64
	v_mul_f32_e32 v57, v67, v63
	v_mul_f32_e32 v66, v60, v67
	;; [unrolled: 1-line block ×3, first 2 shown]
	v_fma_f32 v60, -v68, v70, 1.0
	v_div_scale_f32 v69, vcc, 1.0, v61, 1.0
	v_fmac_f32_e32 v70, v60, v70
	v_mul_f32_e32 v60, v69, v70
	v_fma_f32 v63, -v68, v60, v69
	v_fmac_f32_e32 v60, v63, v70
	v_fma_f32 v63, -v68, v60, v69
	v_div_fmas_f32 v60, v63, v70, v60
	v_div_fixup_f32 v60, v60, v61, 1.0
	v_mul_f32_e32 v60, v60, v62
	v_mul_f32_e32 v60, v43, v60
	;; [unrolled: 1-line block ×3, first 2 shown]
	v_fmac_f32_e32 v60, v65, v66
	s_waitcnt vmcnt(0)
	v_fma_f32 v58, v57, v59, -v58
	v_mul_f32_e32 v57, v57, v58
	v_mul_f32_e32 v58, v67, v57
	v_fmac_f32_e32 v58, v31, v60
	v_pk_mul_f32 v[60:61], v[28:29], v[58:59] op_sel_hi:[1,0]
	v_pk_fma_f32 v[36:37], v[28:29], v[58:59], v[36:37] op_sel_hi:[1,0,1] neg_lo:[1,0,0] neg_hi:[1,0,0]
	v_fma_f32 v35, -v30, v58, v35
	v_add_f32_e32 v1, v1, v60
	v_add_f32_e32 v9, v9, v61
	v_fma_f32 v17, v30, v58, v17
.LBB0_18:                               ;   in Loop: Header=BB0_7 Depth=2
	s_or_b64 exec, exec, s[44:45]
.LBB0_19:                               ;   in Loop: Header=BB0_7 Depth=2
	s_or_b64 exec, exec, s[42:43]
.LBB0_20:                               ;   in Loop: Header=BB0_7 Depth=2
	s_or_b64 exec, exec, s[40:41]
	s_lshl_b32 s17, 4, s26
	v_and_b32_e32 v28, s17, v55
	v_cmp_ne_u32_e32 vcc, 0, v28
	s_and_saveexec_b64 s[40:41], vcc
	s_cbranch_execz .LBB0_26
; %bb.21:                               ;   in Loop: Header=BB0_7 Depth=2
	ds_read_b128 v[28:31], v53 offset:256
	s_waitcnt vmcnt(1) lgkmcnt(0)
	v_pk_add_f32 v[28:29], v[28:29], v[24:25] neg_lo:[0,1] neg_hi:[0,1]
	v_pk_mul_f32 v[58:59], v[28:29], v[28:29]
	v_sub_f32_e32 v30, v30, v26
	v_add_f32_e32 v57, v58, v59
	v_fmac_f32_e32 v57, v30, v30
	v_cmp_gt_f32_e32 vcc, s29, v57
	s_and_saveexec_b64 s[42:43], vcc
	s_cbranch_execz .LBB0_25
; %bb.22:                               ;   in Loop: Header=BB0_7 Depth=2
	s_cmp_lg_u32 s51, s19
	s_cselect_b64 s[44:45], -1, 0
	s_or_b64 s[44:45], s[0:1], s[44:45]
	s_or_b64 s[58:59], s[12:13], s[44:45]
	s_and_saveexec_b64 s[44:45], s[58:59]
	s_cbranch_execz .LBB0_24
; %bb.23:                               ;   in Loop: Header=BB0_7 Depth=2
	ds_read_b32 v58, v48 offset:64
	v_mov_b32_e32 v60, s39
	v_max_f32_e32 v57, v57, v57
	v_max_f32_e32 v57, 0x34cd15ae, v57
	v_rsq_f32_e32 v65, v57
	s_waitcnt vmcnt(0) lgkmcnt(0)
	v_mad_u64_u32 v[58:59], s[58:59], v58, s28, v[38:39]
	v_ashrrev_i32_e32 v59, 31, v58
	v_lshlrev_b64 v[58:59], 3, v[58:59]
	v_add_co_u32_e32 v58, vcc, s38, v58
	v_addc_co_u32_e32 v59, vcc, v60, v59, vcc
	global_load_dwordx2 v[58:59], v[58:59], off
	v_mul_f32_e32 v57, v42, v57
	v_mov_b32_e32 v61, 0x3ded3cb2
	v_mul_f32_e32 v66, v57, v57
	v_mov_b32_e32 v62, 0x3f01e2bc
	v_fmac_f32_e32 v61, 0x3a92b707, v66
	v_fmac_f32_e32 v62, 0x3c739487, v66
	v_fma_f32 v61, v66, v61, 1.0
	v_fmac_f32_e32 v61, v57, v62
	v_mov_b32_e32 v63, 0xb85ffb93
	v_div_scale_f32 v68, s[58:59], v61, v61, 1.0
	v_mov_b32_e32 v64, 0x3a83ca0c
	v_fmac_f32_e32 v63, 0xb2951928, v66
	v_rcp_f32_e32 v70, v68
	v_and_b32_e32 v60, s17, v56
	v_fmac_f32_e32 v64, 0x35c55945, v66
	v_fma_f32 v63, v66, v63, v50
	v_mul_f32_e32 v67, v65, v65
	v_cmp_eq_u32_e32 vcc, 0, v60
	v_fma_f32 v64, v66, v64, v51
	v_fma_f32 v62, v66, v63, v52
	v_mul_f32_e32 v63, v67, v67
	v_cndmask_b32_e64 v60, 1.0, 0, vcc
	v_fmac_f32_e32 v62, v57, v64
	v_mul_f32_e32 v57, v67, v63
	v_mul_f32_e32 v66, v60, v67
	;; [unrolled: 1-line block ×3, first 2 shown]
	v_fma_f32 v60, -v68, v70, 1.0
	v_div_scale_f32 v69, vcc, 1.0, v61, 1.0
	v_fmac_f32_e32 v70, v60, v70
	v_mul_f32_e32 v60, v69, v70
	v_fma_f32 v63, -v68, v60, v69
	v_fmac_f32_e32 v60, v63, v70
	v_fma_f32 v63, -v68, v60, v69
	v_div_fmas_f32 v60, v63, v70, v60
	v_div_fixup_f32 v60, v60, v61, 1.0
	v_mul_f32_e32 v60, v60, v62
	v_mul_f32_e32 v60, v43, v60
	;; [unrolled: 1-line block ×3, first 2 shown]
	v_fmac_f32_e32 v60, v65, v66
	s_waitcnt vmcnt(0)
	v_fma_f32 v58, v57, v59, -v58
	v_mul_f32_e32 v57, v57, v58
	v_mul_f32_e32 v58, v67, v57
	v_fmac_f32_e32 v58, v31, v60
	v_pk_mul_f32 v[60:61], v[28:29], v[58:59] op_sel_hi:[1,0]
	v_pk_fma_f32 v[36:37], v[28:29], v[58:59], v[36:37] op_sel_hi:[1,0,1] neg_lo:[1,0,0] neg_hi:[1,0,0]
	v_fma_f32 v35, -v30, v58, v35
	v_add_f32_e32 v2, v2, v60
	v_add_f32_e32 v10, v10, v61
	v_fma_f32 v18, v30, v58, v18
.LBB0_24:                               ;   in Loop: Header=BB0_7 Depth=2
	s_or_b64 exec, exec, s[44:45]
.LBB0_25:                               ;   in Loop: Header=BB0_7 Depth=2
	s_or_b64 exec, exec, s[42:43]
.LBB0_26:                               ;   in Loop: Header=BB0_7 Depth=2
	s_or_b64 exec, exec, s[40:41]
	s_lshl_b32 s17, 8, s26
	v_and_b32_e32 v28, s17, v55
	v_cmp_ne_u32_e32 vcc, 0, v28
	s_and_saveexec_b64 s[40:41], vcc
	s_cbranch_execz .LBB0_32
; %bb.27:                               ;   in Loop: Header=BB0_7 Depth=2
	ds_read_b128 v[28:31], v53 offset:384
	s_waitcnt vmcnt(1) lgkmcnt(0)
	v_pk_add_f32 v[28:29], v[28:29], v[24:25] neg_lo:[0,1] neg_hi:[0,1]
	v_pk_mul_f32 v[58:59], v[28:29], v[28:29]
	v_sub_f32_e32 v30, v30, v26
	v_add_f32_e32 v57, v58, v59
	v_fmac_f32_e32 v57, v30, v30
	v_cmp_gt_f32_e32 vcc, s29, v57
	s_and_saveexec_b64 s[42:43], vcc
	s_cbranch_execz .LBB0_31
; %bb.28:                               ;   in Loop: Header=BB0_7 Depth=2
	s_cmp_lg_u32 s52, s19
	s_cselect_b64 s[44:45], -1, 0
	s_or_b64 s[44:45], s[0:1], s[44:45]
	s_or_b64 s[58:59], s[12:13], s[44:45]
	s_and_saveexec_b64 s[44:45], s[58:59]
	s_cbranch_execz .LBB0_30
; %bb.29:                               ;   in Loop: Header=BB0_7 Depth=2
	ds_read_b32 v58, v48 offset:96
	v_mov_b32_e32 v60, s39
	v_max_f32_e32 v57, v57, v57
	v_max_f32_e32 v57, 0x34cd15ae, v57
	v_rsq_f32_e32 v65, v57
	s_waitcnt vmcnt(0) lgkmcnt(0)
	v_mad_u64_u32 v[58:59], s[58:59], v58, s28, v[38:39]
	v_ashrrev_i32_e32 v59, 31, v58
	v_lshlrev_b64 v[58:59], 3, v[58:59]
	v_add_co_u32_e32 v58, vcc, s38, v58
	v_addc_co_u32_e32 v59, vcc, v60, v59, vcc
	global_load_dwordx2 v[58:59], v[58:59], off
	v_mul_f32_e32 v57, v42, v57
	v_mov_b32_e32 v61, 0x3ded3cb2
	v_mul_f32_e32 v66, v57, v57
	v_mov_b32_e32 v62, 0x3f01e2bc
	v_fmac_f32_e32 v61, 0x3a92b707, v66
	v_fmac_f32_e32 v62, 0x3c739487, v66
	v_fma_f32 v61, v66, v61, 1.0
	v_fmac_f32_e32 v61, v57, v62
	v_mov_b32_e32 v63, 0xb85ffb93
	v_div_scale_f32 v68, s[58:59], v61, v61, 1.0
	v_mov_b32_e32 v64, 0x3a83ca0c
	v_fmac_f32_e32 v63, 0xb2951928, v66
	v_rcp_f32_e32 v70, v68
	v_and_b32_e32 v60, s17, v56
	v_fmac_f32_e32 v64, 0x35c55945, v66
	v_fma_f32 v63, v66, v63, v50
	v_mul_f32_e32 v67, v65, v65
	v_cmp_eq_u32_e32 vcc, 0, v60
	v_fma_f32 v64, v66, v64, v51
	v_fma_f32 v62, v66, v63, v52
	v_mul_f32_e32 v63, v67, v67
	v_cndmask_b32_e64 v60, 1.0, 0, vcc
	v_fmac_f32_e32 v62, v57, v64
	v_mul_f32_e32 v57, v67, v63
	v_mul_f32_e32 v66, v60, v67
	;; [unrolled: 1-line block ×3, first 2 shown]
	v_fma_f32 v60, -v68, v70, 1.0
	v_div_scale_f32 v69, vcc, 1.0, v61, 1.0
	v_fmac_f32_e32 v70, v60, v70
	v_mul_f32_e32 v60, v69, v70
	v_fma_f32 v63, -v68, v60, v69
	v_fmac_f32_e32 v60, v63, v70
	v_fma_f32 v63, -v68, v60, v69
	v_div_fmas_f32 v60, v63, v70, v60
	v_div_fixup_f32 v60, v60, v61, 1.0
	v_mul_f32_e32 v60, v60, v62
	v_mul_f32_e32 v60, v43, v60
	;; [unrolled: 1-line block ×3, first 2 shown]
	v_fmac_f32_e32 v60, v65, v66
	s_waitcnt vmcnt(0)
	v_fma_f32 v58, v57, v59, -v58
	v_mul_f32_e32 v57, v57, v58
	v_mul_f32_e32 v58, v67, v57
	v_fmac_f32_e32 v58, v31, v60
	v_pk_mul_f32 v[60:61], v[28:29], v[58:59] op_sel_hi:[1,0]
	v_pk_fma_f32 v[36:37], v[28:29], v[58:59], v[36:37] op_sel_hi:[1,0,1] neg_lo:[1,0,0] neg_hi:[1,0,0]
	v_fma_f32 v35, -v30, v58, v35
	v_add_f32_e32 v3, v3, v60
	v_add_f32_e32 v11, v11, v61
	v_fma_f32 v19, v30, v58, v19
.LBB0_30:                               ;   in Loop: Header=BB0_7 Depth=2
	s_or_b64 exec, exec, s[44:45]
.LBB0_31:                               ;   in Loop: Header=BB0_7 Depth=2
	s_or_b64 exec, exec, s[42:43]
.LBB0_32:                               ;   in Loop: Header=BB0_7 Depth=2
	s_or_b64 exec, exec, s[40:41]
	s_lshl_b32 s17, 16, s26
	v_and_b32_e32 v28, s17, v55
	v_cmp_ne_u32_e32 vcc, 0, v28
	s_and_saveexec_b64 s[40:41], vcc
	s_cbranch_execz .LBB0_38
; %bb.33:                               ;   in Loop: Header=BB0_7 Depth=2
	ds_read_b128 v[28:31], v53 offset:512
	s_waitcnt vmcnt(1) lgkmcnt(0)
	v_pk_add_f32 v[28:29], v[28:29], v[24:25] neg_lo:[0,1] neg_hi:[0,1]
	v_pk_mul_f32 v[58:59], v[28:29], v[28:29]
	v_sub_f32_e32 v30, v30, v26
	v_add_f32_e32 v57, v58, v59
	v_fmac_f32_e32 v57, v30, v30
	v_cmp_gt_f32_e32 vcc, s29, v57
	s_and_saveexec_b64 s[42:43], vcc
	s_cbranch_execz .LBB0_37
; %bb.34:                               ;   in Loop: Header=BB0_7 Depth=2
	s_cmp_lg_u32 s53, s19
	s_cselect_b64 s[44:45], -1, 0
	s_or_b64 s[44:45], s[0:1], s[44:45]
	s_or_b64 s[58:59], s[12:13], s[44:45]
	s_and_saveexec_b64 s[44:45], s[58:59]
	s_cbranch_execz .LBB0_36
; %bb.35:                               ;   in Loop: Header=BB0_7 Depth=2
	ds_read_b32 v58, v48 offset:128
	v_mov_b32_e32 v60, s39
	v_max_f32_e32 v57, v57, v57
	v_max_f32_e32 v57, 0x34cd15ae, v57
	v_rsq_f32_e32 v65, v57
	s_waitcnt vmcnt(0) lgkmcnt(0)
	v_mad_u64_u32 v[58:59], s[58:59], v58, s28, v[38:39]
	v_ashrrev_i32_e32 v59, 31, v58
	v_lshlrev_b64 v[58:59], 3, v[58:59]
	v_add_co_u32_e32 v58, vcc, s38, v58
	v_addc_co_u32_e32 v59, vcc, v60, v59, vcc
	global_load_dwordx2 v[58:59], v[58:59], off
	v_mul_f32_e32 v57, v42, v57
	v_mov_b32_e32 v61, 0x3ded3cb2
	v_mul_f32_e32 v66, v57, v57
	v_mov_b32_e32 v62, 0x3f01e2bc
	v_fmac_f32_e32 v61, 0x3a92b707, v66
	v_fmac_f32_e32 v62, 0x3c739487, v66
	v_fma_f32 v61, v66, v61, 1.0
	v_fmac_f32_e32 v61, v57, v62
	v_mov_b32_e32 v63, 0xb85ffb93
	v_div_scale_f32 v68, s[58:59], v61, v61, 1.0
	v_mov_b32_e32 v64, 0x3a83ca0c
	v_fmac_f32_e32 v63, 0xb2951928, v66
	v_rcp_f32_e32 v70, v68
	v_and_b32_e32 v60, s17, v56
	v_fmac_f32_e32 v64, 0x35c55945, v66
	v_fma_f32 v63, v66, v63, v50
	v_mul_f32_e32 v67, v65, v65
	v_cmp_eq_u32_e32 vcc, 0, v60
	v_fma_f32 v64, v66, v64, v51
	v_fma_f32 v62, v66, v63, v52
	v_mul_f32_e32 v63, v67, v67
	v_cndmask_b32_e64 v60, 1.0, 0, vcc
	v_fmac_f32_e32 v62, v57, v64
	v_mul_f32_e32 v57, v67, v63
	v_mul_f32_e32 v66, v60, v67
	;; [unrolled: 1-line block ×3, first 2 shown]
	v_fma_f32 v60, -v68, v70, 1.0
	v_div_scale_f32 v69, vcc, 1.0, v61, 1.0
	v_fmac_f32_e32 v70, v60, v70
	v_mul_f32_e32 v60, v69, v70
	v_fma_f32 v63, -v68, v60, v69
	v_fmac_f32_e32 v60, v63, v70
	v_fma_f32 v63, -v68, v60, v69
	v_div_fmas_f32 v60, v63, v70, v60
	v_div_fixup_f32 v60, v60, v61, 1.0
	v_mul_f32_e32 v60, v60, v62
	v_mul_f32_e32 v60, v43, v60
	v_mul_f32_e32 v31, v27, v31
	v_fmac_f32_e32 v60, v65, v66
	s_waitcnt vmcnt(0)
	v_fma_f32 v58, v57, v59, -v58
	v_mul_f32_e32 v57, v57, v58
	v_mul_f32_e32 v58, v67, v57
	v_fmac_f32_e32 v58, v31, v60
	v_pk_mul_f32 v[60:61], v[28:29], v[58:59] op_sel_hi:[1,0]
	v_pk_fma_f32 v[36:37], v[28:29], v[58:59], v[36:37] op_sel_hi:[1,0,1] neg_lo:[1,0,0] neg_hi:[1,0,0]
	v_fma_f32 v35, -v30, v58, v35
	v_add_f32_e32 v4, v4, v60
	v_add_f32_e32 v12, v12, v61
	v_fma_f32 v20, v30, v58, v20
.LBB0_36:                               ;   in Loop: Header=BB0_7 Depth=2
	s_or_b64 exec, exec, s[44:45]
.LBB0_37:                               ;   in Loop: Header=BB0_7 Depth=2
	s_or_b64 exec, exec, s[42:43]
.LBB0_38:                               ;   in Loop: Header=BB0_7 Depth=2
	s_or_b64 exec, exec, s[40:41]
	s_lshl_b32 s17, 32, s26
	v_and_b32_e32 v28, s17, v55
	v_cmp_ne_u32_e32 vcc, 0, v28
	s_and_saveexec_b64 s[40:41], vcc
	s_cbranch_execz .LBB0_44
; %bb.39:                               ;   in Loop: Header=BB0_7 Depth=2
	ds_read_b128 v[28:31], v53 offset:640
	s_waitcnt vmcnt(1) lgkmcnt(0)
	v_pk_add_f32 v[28:29], v[28:29], v[24:25] neg_lo:[0,1] neg_hi:[0,1]
	v_pk_mul_f32 v[58:59], v[28:29], v[28:29]
	v_sub_f32_e32 v30, v30, v26
	v_add_f32_e32 v57, v58, v59
	v_fmac_f32_e32 v57, v30, v30
	v_cmp_gt_f32_e32 vcc, s29, v57
	s_and_saveexec_b64 s[42:43], vcc
	s_cbranch_execz .LBB0_43
; %bb.40:                               ;   in Loop: Header=BB0_7 Depth=2
	s_cmp_lg_u32 s54, s19
	s_cselect_b64 s[44:45], -1, 0
	s_or_b64 s[44:45], s[0:1], s[44:45]
	s_or_b64 s[58:59], s[12:13], s[44:45]
	s_and_saveexec_b64 s[44:45], s[58:59]
	s_cbranch_execz .LBB0_42
; %bb.41:                               ;   in Loop: Header=BB0_7 Depth=2
	ds_read_b32 v58, v48 offset:160
	v_mov_b32_e32 v60, s39
	v_max_f32_e32 v57, v57, v57
	v_max_f32_e32 v57, 0x34cd15ae, v57
	v_rsq_f32_e32 v65, v57
	s_waitcnt vmcnt(0) lgkmcnt(0)
	v_mad_u64_u32 v[58:59], s[58:59], v58, s28, v[38:39]
	v_ashrrev_i32_e32 v59, 31, v58
	v_lshlrev_b64 v[58:59], 3, v[58:59]
	v_add_co_u32_e32 v58, vcc, s38, v58
	v_addc_co_u32_e32 v59, vcc, v60, v59, vcc
	global_load_dwordx2 v[58:59], v[58:59], off
	v_mul_f32_e32 v57, v42, v57
	v_mov_b32_e32 v61, 0x3ded3cb2
	v_mul_f32_e32 v66, v57, v57
	v_mov_b32_e32 v62, 0x3f01e2bc
	v_fmac_f32_e32 v61, 0x3a92b707, v66
	v_fmac_f32_e32 v62, 0x3c739487, v66
	v_fma_f32 v61, v66, v61, 1.0
	v_fmac_f32_e32 v61, v57, v62
	v_mov_b32_e32 v63, 0xb85ffb93
	v_div_scale_f32 v68, s[58:59], v61, v61, 1.0
	v_mov_b32_e32 v64, 0x3a83ca0c
	v_fmac_f32_e32 v63, 0xb2951928, v66
	v_rcp_f32_e32 v70, v68
	v_and_b32_e32 v60, s17, v56
	v_fmac_f32_e32 v64, 0x35c55945, v66
	v_fma_f32 v63, v66, v63, v50
	v_mul_f32_e32 v67, v65, v65
	v_cmp_eq_u32_e32 vcc, 0, v60
	v_fma_f32 v64, v66, v64, v51
	v_fma_f32 v62, v66, v63, v52
	v_mul_f32_e32 v63, v67, v67
	v_cndmask_b32_e64 v60, 1.0, 0, vcc
	v_fmac_f32_e32 v62, v57, v64
	v_mul_f32_e32 v57, v67, v63
	v_mul_f32_e32 v66, v60, v67
	;; [unrolled: 1-line block ×3, first 2 shown]
	v_fma_f32 v60, -v68, v70, 1.0
	v_div_scale_f32 v69, vcc, 1.0, v61, 1.0
	v_fmac_f32_e32 v70, v60, v70
	v_mul_f32_e32 v60, v69, v70
	v_fma_f32 v63, -v68, v60, v69
	v_fmac_f32_e32 v60, v63, v70
	v_fma_f32 v63, -v68, v60, v69
	v_div_fmas_f32 v60, v63, v70, v60
	v_div_fixup_f32 v60, v60, v61, 1.0
	v_mul_f32_e32 v60, v60, v62
	v_mul_f32_e32 v60, v43, v60
	;; [unrolled: 1-line block ×3, first 2 shown]
	v_fmac_f32_e32 v60, v65, v66
	s_waitcnt vmcnt(0)
	v_fma_f32 v58, v57, v59, -v58
	v_mul_f32_e32 v57, v57, v58
	v_mul_f32_e32 v58, v67, v57
	v_fmac_f32_e32 v58, v31, v60
	v_pk_mul_f32 v[60:61], v[28:29], v[58:59] op_sel_hi:[1,0]
	v_pk_fma_f32 v[36:37], v[28:29], v[58:59], v[36:37] op_sel_hi:[1,0,1] neg_lo:[1,0,0] neg_hi:[1,0,0]
	v_fma_f32 v35, -v30, v58, v35
	v_add_f32_e32 v5, v5, v60
	v_add_f32_e32 v13, v13, v61
	v_fma_f32 v21, v30, v58, v21
.LBB0_42:                               ;   in Loop: Header=BB0_7 Depth=2
	s_or_b64 exec, exec, s[44:45]
.LBB0_43:                               ;   in Loop: Header=BB0_7 Depth=2
	s_or_b64 exec, exec, s[42:43]
.LBB0_44:                               ;   in Loop: Header=BB0_7 Depth=2
	s_or_b64 exec, exec, s[40:41]
	s_lshl_b32 s17, 64, s26
	v_and_b32_e32 v28, s17, v55
	v_cmp_ne_u32_e32 vcc, 0, v28
	s_and_saveexec_b64 s[40:41], vcc
	s_cbranch_execz .LBB0_50
; %bb.45:                               ;   in Loop: Header=BB0_7 Depth=2
	ds_read_b128 v[28:31], v53 offset:768
	s_waitcnt vmcnt(1) lgkmcnt(0)
	v_pk_add_f32 v[28:29], v[28:29], v[24:25] neg_lo:[0,1] neg_hi:[0,1]
	v_pk_mul_f32 v[58:59], v[28:29], v[28:29]
	v_sub_f32_e32 v30, v30, v26
	v_add_f32_e32 v57, v58, v59
	v_fmac_f32_e32 v57, v30, v30
	v_cmp_gt_f32_e32 vcc, s29, v57
	s_and_saveexec_b64 s[42:43], vcc
	s_cbranch_execz .LBB0_49
; %bb.46:                               ;   in Loop: Header=BB0_7 Depth=2
	s_cmp_lg_u32 s55, s19
	s_cselect_b64 s[44:45], -1, 0
	s_or_b64 s[44:45], s[0:1], s[44:45]
	s_or_b64 s[58:59], s[12:13], s[44:45]
	s_and_saveexec_b64 s[44:45], s[58:59]
	s_cbranch_execz .LBB0_48
; %bb.47:                               ;   in Loop: Header=BB0_7 Depth=2
	ds_read_b32 v58, v48 offset:192
	v_mov_b32_e32 v60, s39
	v_max_f32_e32 v57, v57, v57
	v_max_f32_e32 v57, 0x34cd15ae, v57
	v_rsq_f32_e32 v65, v57
	s_waitcnt vmcnt(0) lgkmcnt(0)
	v_mad_u64_u32 v[58:59], s[58:59], v58, s28, v[38:39]
	v_ashrrev_i32_e32 v59, 31, v58
	v_lshlrev_b64 v[58:59], 3, v[58:59]
	v_add_co_u32_e32 v58, vcc, s38, v58
	v_addc_co_u32_e32 v59, vcc, v60, v59, vcc
	global_load_dwordx2 v[58:59], v[58:59], off
	v_mul_f32_e32 v57, v42, v57
	v_mov_b32_e32 v61, 0x3ded3cb2
	v_mul_f32_e32 v66, v57, v57
	v_mov_b32_e32 v62, 0x3f01e2bc
	v_fmac_f32_e32 v61, 0x3a92b707, v66
	v_fmac_f32_e32 v62, 0x3c739487, v66
	v_fma_f32 v61, v66, v61, 1.0
	v_fmac_f32_e32 v61, v57, v62
	v_mov_b32_e32 v63, 0xb85ffb93
	v_div_scale_f32 v68, s[58:59], v61, v61, 1.0
	v_mov_b32_e32 v64, 0x3a83ca0c
	v_fmac_f32_e32 v63, 0xb2951928, v66
	v_rcp_f32_e32 v70, v68
	v_and_b32_e32 v60, s17, v56
	v_fmac_f32_e32 v64, 0x35c55945, v66
	v_fma_f32 v63, v66, v63, v50
	v_mul_f32_e32 v67, v65, v65
	v_cmp_eq_u32_e32 vcc, 0, v60
	v_fma_f32 v64, v66, v64, v51
	v_fma_f32 v62, v66, v63, v52
	v_mul_f32_e32 v63, v67, v67
	v_cndmask_b32_e64 v60, 1.0, 0, vcc
	v_fmac_f32_e32 v62, v57, v64
	v_mul_f32_e32 v57, v67, v63
	v_mul_f32_e32 v66, v60, v67
	;; [unrolled: 1-line block ×3, first 2 shown]
	v_fma_f32 v60, -v68, v70, 1.0
	v_div_scale_f32 v69, vcc, 1.0, v61, 1.0
	v_fmac_f32_e32 v70, v60, v70
	v_mul_f32_e32 v60, v69, v70
	v_fma_f32 v63, -v68, v60, v69
	v_fmac_f32_e32 v60, v63, v70
	v_fma_f32 v63, -v68, v60, v69
	v_div_fmas_f32 v60, v63, v70, v60
	v_div_fixup_f32 v60, v60, v61, 1.0
	v_mul_f32_e32 v60, v60, v62
	v_mul_f32_e32 v60, v43, v60
	;; [unrolled: 1-line block ×3, first 2 shown]
	v_fmac_f32_e32 v60, v65, v66
	s_waitcnt vmcnt(0)
	v_fma_f32 v58, v57, v59, -v58
	v_mul_f32_e32 v57, v57, v58
	v_mul_f32_e32 v58, v67, v57
	v_fmac_f32_e32 v58, v31, v60
	v_pk_mul_f32 v[60:61], v[28:29], v[58:59] op_sel_hi:[1,0]
	v_pk_fma_f32 v[36:37], v[28:29], v[58:59], v[36:37] op_sel_hi:[1,0,1] neg_lo:[1,0,0] neg_hi:[1,0,0]
	v_fma_f32 v35, -v30, v58, v35
	v_add_f32_e32 v6, v6, v60
	v_add_f32_e32 v14, v14, v61
	v_fma_f32 v22, v30, v58, v22
.LBB0_48:                               ;   in Loop: Header=BB0_7 Depth=2
	s_or_b64 exec, exec, s[44:45]
.LBB0_49:                               ;   in Loop: Header=BB0_7 Depth=2
	s_or_b64 exec, exec, s[42:43]
.LBB0_50:                               ;   in Loop: Header=BB0_7 Depth=2
	s_or_b64 exec, exec, s[40:41]
	s_lshl_b32 s17, 0x80, s26
	v_and_b32_e32 v28, s17, v55
	v_cmp_ne_u32_e32 vcc, 0, v28
	s_and_saveexec_b64 s[40:41], vcc
	s_cbranch_execz .LBB0_56
; %bb.51:                               ;   in Loop: Header=BB0_7 Depth=2
	ds_read_b128 v[28:31], v53 offset:896
	s_waitcnt vmcnt(1) lgkmcnt(0)
	v_pk_add_f32 v[24:25], v[28:29], v[24:25] neg_lo:[0,1] neg_hi:[0,1]
	v_pk_mul_f32 v[28:29], v[24:25], v[24:25]
	v_sub_f32_e32 v26, v30, v26
	v_add_f32_e32 v28, v28, v29
	v_fmac_f32_e32 v28, v26, v26
	v_cmp_gt_f32_e32 vcc, s29, v28
	s_and_saveexec_b64 s[42:43], vcc
	s_cbranch_execz .LBB0_55
; %bb.52:                               ;   in Loop: Header=BB0_7 Depth=2
	s_cmp_lg_u32 s56, s19
	s_cselect_b64 s[44:45], -1, 0
	s_or_b64 s[44:45], s[0:1], s[44:45]
	s_or_b64 s[58:59], s[12:13], s[44:45]
	s_and_saveexec_b64 s[44:45], s[58:59]
	s_cbranch_execz .LBB0_54
; %bb.53:                               ;   in Loop: Header=BB0_7 Depth=2
	ds_read_b32 v29, v48 offset:224
	v_mov_b32_e32 v30, s39
	v_max_f32_e32 v28, v28, v28
	v_max_f32_e32 v28, 0x34cd15ae, v28
	v_rsq_f32_e32 v60, v28
	s_waitcnt vmcnt(0) lgkmcnt(0)
	v_mad_u64_u32 v[58:59], s[58:59], v29, s28, v[38:39]
	v_ashrrev_i32_e32 v59, 31, v58
	v_lshlrev_b64 v[58:59], 3, v[58:59]
	v_add_co_u32_e32 v58, vcc, s38, v58
	v_addc_co_u32_e32 v59, vcc, v30, v59, vcc
	global_load_dwordx2 v[58:59], v[58:59], off
	v_mul_f32_e32 v28, v42, v28
	v_mov_b32_e32 v30, 0x3ded3cb2
	v_mul_f32_e32 v61, v28, v28
	v_mul_f32_e32 v27, v27, v31
	v_mov_b32_e32 v31, 0x3f01e2bc
	v_fmac_f32_e32 v30, 0x3a92b707, v61
	v_fmac_f32_e32 v31, 0x3c739487, v61
	v_fma_f32 v30, v61, v30, 1.0
	v_fmac_f32_e32 v30, v28, v31
	v_mov_b32_e32 v38, 0xb85ffb93
	v_div_scale_f32 v63, s[58:59], v30, v30, 1.0
	v_mov_b32_e32 v57, 0x3a83ca0c
	v_fmac_f32_e32 v38, 0xb2951928, v61
	v_rcp_f32_e32 v65, v63
	v_and_b32_e32 v29, s17, v56
	v_fmac_f32_e32 v57, 0x35c55945, v61
	v_fma_f32 v38, v61, v38, v50
	v_mul_f32_e32 v62, v60, v60
	v_cmp_eq_u32_e32 vcc, 0, v29
	v_fma_f32 v57, v61, v57, v51
	v_fma_f32 v31, v61, v38, v52
	v_mul_f32_e32 v38, v62, v62
	v_cndmask_b32_e64 v29, 1.0, 0, vcc
	v_fmac_f32_e32 v31, v28, v57
	v_mul_f32_e32 v28, v62, v38
	v_mul_f32_e32 v61, v29, v62
	;; [unrolled: 1-line block ×3, first 2 shown]
	v_fma_f32 v29, -v63, v65, 1.0
	v_div_scale_f32 v64, vcc, 1.0, v30, 1.0
	v_fmac_f32_e32 v65, v29, v65
	v_mul_f32_e32 v29, v64, v65
	v_fma_f32 v38, -v63, v29, v64
	v_fmac_f32_e32 v29, v38, v65
	v_fma_f32 v38, -v63, v29, v64
	v_div_fmas_f32 v29, v38, v65, v29
	v_div_fixup_f32 v29, v29, v30, 1.0
	v_mul_f32_e32 v29, v29, v31
	v_mul_f32_e32 v29, v43, v29
	v_fmac_f32_e32 v29, v60, v61
	s_waitcnt vmcnt(0)
	v_fma_f32 v30, v28, v59, -v58
	v_mul_f32_e32 v28, v28, v30
	v_mul_f32_e32 v28, v62, v28
	v_fmac_f32_e32 v28, v27, v29
	v_pk_mul_f32 v[30:31], v[24:25], v[28:29] op_sel_hi:[1,0]
	v_pk_fma_f32 v[36:37], v[24:25], v[28:29], v[36:37] op_sel_hi:[1,0,1] neg_lo:[1,0,0] neg_hi:[1,0,0]
	v_fma_f32 v35, -v26, v28, v35
	v_add_f32_e32 v7, v7, v30
	v_add_f32_e32 v15, v15, v31
	v_fma_f32 v23, v26, v28, v23
.LBB0_54:                               ;   in Loop: Header=BB0_7 Depth=2
	s_or_b64 exec, exec, s[44:45]
.LBB0_55:                               ;   in Loop: Header=BB0_7 Depth=2
	s_or_b64 exec, exec, s[42:43]
.LBB0_56:                               ;   in Loop: Header=BB0_7 Depth=2
	s_or_b64 exec, exec, s[40:41]
	s_waitcnt vmcnt(1)
	v_and_b32_e32 v24, 63, v54
	v_cmp_ne_u32_e32 vcc, 63, v24
	v_addc_co_u32_e32 v25, vcc, 0, v54, vcc
	v_add_u32_e32 v27, -1, v54
	v_and_b32_e32 v28, 64, v54
	v_cmp_lt_i32_e32 vcc, v27, v28
	v_cndmask_b32_e32 v27, v27, v54, vcc
	v_lshlrev_b32_e32 v25, 2, v25
	v_lshlrev_b32_e32 v27, 2, v27
	ds_bpermute_b32 v26, v25, v36
	ds_bpermute_b32 v27, v27, v37
	;; [unrolled: 1-line block ×3, first 2 shown]
	v_cmp_gt_u32_e32 vcc, 62, v24
	v_add_u32_e32 v29, -2, v54
	s_waitcnt lgkmcnt(2)
	v_add_f32_e32 v26, v36, v26
	s_waitcnt lgkmcnt(1)
	v_add_f32_e32 v27, v37, v27
	v_cndmask_b32_e64 v26, v27, v26, s[2:3]
	v_cndmask_b32_e64 v27, 0, 1, vcc
	v_cmp_lt_i32_e32 vcc, v29, v28
	v_lshlrev_b32_e32 v27, 1, v27
	v_cndmask_b32_e32 v28, v29, v54, vcc
	s_waitcnt lgkmcnt(0)
	v_add_f32_e32 v25, v35, v25
	v_add_lshl_u32 v27, v27, v54, 2
	v_lshlrev_b32_e32 v28, 2, v28
	ds_bpermute_b32 v27, v27, v26
	ds_bpermute_b32 v28, v28, v25
	v_cmp_gt_u32_e32 vcc, 60, v24
	v_cndmask_b32_e64 v24, 0, 1, vcc
	v_lshlrev_b32_e32 v24, 2, v24
	s_waitcnt lgkmcnt(1)
	v_add_f32_e32 v26, v26, v27
	s_waitcnt lgkmcnt(0)
	v_add_f32_e32 v25, v25, v28
	v_cndmask_b32_e64 v26, v25, v26, s[4:5]
	v_add_lshl_u32 v24, v24, v54, 2
	ds_bpermute_b32 v28, v24, v26
	s_and_saveexec_b64 s[40:41], s[6:7]
	s_xor_b64 s[40:41], exec, s[40:41]
	s_cbranch_execz .LBB0_5
; %bb.57:                               ;   in Loop: Header=BB0_7 Depth=2
	v_mad_i64_i32 v[24:25], s[42:43], v34, 12, v[32:33]
	global_load_dword v27, v[24:25], off
	s_waitcnt lgkmcnt(0)
	v_add_f32_e32 v28, v26, v28
	s_mov_b64 s[42:43], 0
.LBB0_58:                               ;   Parent Loop BB0_3 Depth=1
                                        ;     Parent Loop BB0_7 Depth=2
                                        ; =>    This Inner Loop Header: Depth=3
	s_waitcnt vmcnt(0)
	v_add_f32_e32 v26, v27, v28
	global_atomic_cmpswap v26, v[24:25], v[26:27], off glc
	s_waitcnt vmcnt(0)
	v_cmp_eq_u32_e32 vcc, v26, v27
	s_or_b64 s[42:43], vcc, s[42:43]
	v_mov_b32_e32 v27, v26
	s_andn2_b64 exec, exec, s[42:43]
	s_cbranch_execnz .LBB0_58
; %bb.59:                               ;   in Loop: Header=BB0_7 Depth=2
	s_or_b64 exec, exec, s[42:43]
	s_branch .LBB0_5
.LBB0_60:
	v_lshlrev_b32_e32 v24, 2, v41
	v_add_u32_e32 v30, 0x400, v24
	v_cmp_gt_u32_e64 s[2:3], 4, v39
	ds_write2st64_b32 v24, v0, v8 offset0:4 offset1:5
	ds_write_b32 v24, v16 offset:1536
	s_waitcnt lgkmcnt(0)
	s_barrier
	s_and_saveexec_b64 s[0:1], s[2:3]
	s_cbranch_execz .LBB0_62
; %bb.61:
	ds_read2_b32 v[24:25], v30 offset1:32
	ds_read2_b32 v[26:27], v30 offset0:64 offset1:96
	ds_read2_b32 v[28:29], v30 offset0:128 offset1:160
	s_waitcnt lgkmcnt(2)
	v_add_f32_e32 v0, v25, v24
	s_waitcnt lgkmcnt(1)
	v_add_f32_e32 v8, v27, v26
	;; [unrolled: 2-line block ×3, first 2 shown]
	ds_write2st64_b32 v30, v0, v8 offset1:1
	ds_write_b32 v30, v16 offset:512
.LBB0_62:
	s_or_b64 exec, exec, s[0:1]
	v_cmp_gt_u32_e64 s[4:5], 2, v39
	s_waitcnt lgkmcnt(0)
	s_barrier
	s_and_saveexec_b64 s[0:1], s[4:5]
	s_cbranch_execz .LBB0_64
; %bb.63:
	ds_read2_b32 v[24:25], v30 offset1:16
	ds_read2_b32 v[26:27], v30 offset0:64 offset1:80
	ds_read2_b32 v[28:29], v30 offset0:128 offset1:144
	s_waitcnt lgkmcnt(2)
	v_add_f32_e32 v0, v25, v24
	s_waitcnt lgkmcnt(1)
	v_add_f32_e32 v8, v27, v26
	;; [unrolled: 2-line block ×3, first 2 shown]
	ds_write2st64_b32 v30, v0, v8 offset1:1
	ds_write_b32 v30, v16 offset:512
.LBB0_64:
	s_or_b64 exec, exec, s[0:1]
	s_bitcmp1_b32 s48, 0
	v_lshlrev_b32_e32 v0, 8, v39
	v_lshlrev_b32_e32 v16, 2, v39
	s_cselect_b64 s[0:1], -1, 0
	v_lshl_add_u32 v31, v40, 2, v0
	v_mov_b32_e32 v0, s11
	v_add_co_u32_e64 v24, s[6:7], s10, v16
	s_and_b64 vcc, s[12:13], s[0:1]
	v_add_u32_e32 v33, s47, v40
	v_cmp_gt_u32_e64 s[0:1], 3, v39
	v_add_u32_e32 v32, 0x400, v31
	v_addc_co_u32_e64 v25, s[6:7], 0, v0, s[6:7]
	v_mov_b32_e32 v26, 0
	s_waitcnt lgkmcnt(0)
	s_barrier
	s_and_saveexec_b64 s[8:9], s[0:1]
	s_cbranch_execz .LBB0_68
; %bb.65:
	v_mad_i64_i32 v[26:27], s[6:7], v33, 12, v[24:25]
	global_load_dword v29, v[26:27], off
	ds_read_b32 v0, v31 offset:1024
	ds_read_b32 v8, v32 offset:32
	s_mov_b64 s[10:11], 0
	s_waitcnt lgkmcnt(0)
	v_add_f32_e32 v0, v0, v8
.LBB0_66:                               ; =>This Inner Loop Header: Depth=1
	s_waitcnt vmcnt(0)
	v_add_f32_e32 v28, v29, v0
	global_atomic_cmpswap v8, v[26:27], v[28:29], off glc
	s_waitcnt vmcnt(0)
	v_cmp_eq_u32_e64 s[6:7], v8, v29
	s_or_b64 s[10:11], s[6:7], s[10:11]
	v_mov_b32_e32 v29, v8
	s_andn2_b64 exec, exec, s[10:11]
	s_cbranch_execnz .LBB0_66
; %bb.67:
	s_or_b64 exec, exec, s[10:11]
	v_add_f32_e32 v0, 0, v0
	v_cndmask_b32_e32 v26, 0, v0, vcc
.LBB0_68:
	s_or_b64 exec, exec, s[8:9]
	s_barrier
	ds_write2st64_b32 v30, v1, v9 offset1:1
	ds_write_b32 v30, v17 offset:512
	s_waitcnt lgkmcnt(0)
	s_barrier
	s_and_saveexec_b64 s[6:7], s[2:3]
	s_cbranch_execz .LBB0_70
; %bb.69:
	ds_read2_b32 v[0:1], v30 offset1:32
	ds_read2_b32 v[8:9], v30 offset0:64 offset1:96
	ds_read2_b32 v[28:29], v30 offset0:128 offset1:160
	s_waitcnt lgkmcnt(2)
	v_add_f32_e32 v0, v1, v0
	s_waitcnt lgkmcnt(1)
	v_add_f32_e32 v1, v9, v8
	;; [unrolled: 2-line block ×3, first 2 shown]
	ds_write2st64_b32 v30, v0, v1 offset1:1
	ds_write_b32 v30, v8 offset:512
.LBB0_70:
	s_or_b64 exec, exec, s[6:7]
	s_waitcnt lgkmcnt(0)
	s_barrier
	s_and_saveexec_b64 s[6:7], s[4:5]
	s_cbranch_execz .LBB0_72
; %bb.71:
	ds_read2_b32 v[0:1], v30 offset1:16
	ds_read2_b32 v[8:9], v30 offset0:64 offset1:80
	ds_read2_b32 v[28:29], v30 offset0:128 offset1:144
	s_waitcnt lgkmcnt(2)
	v_add_f32_e32 v0, v1, v0
	s_waitcnt lgkmcnt(1)
	v_add_f32_e32 v1, v9, v8
	;; [unrolled: 2-line block ×3, first 2 shown]
	ds_write2st64_b32 v30, v0, v1 offset1:1
	ds_write_b32 v30, v8 offset:512
.LBB0_72:
	s_or_b64 exec, exec, s[6:7]
	s_waitcnt lgkmcnt(0)
	s_barrier
	s_and_saveexec_b64 s[8:9], s[0:1]
	s_cbranch_execz .LBB0_76
; %bb.73:
	v_add_u32_e32 v0, 8, v33
	v_mad_i64_i32 v[0:1], s[6:7], v0, 12, v[24:25]
	global_load_dword v9, v[0:1], off
	ds_read_b32 v8, v31 offset:1024
	ds_read_b32 v17, v32 offset:32
	s_mov_b64 s[10:11], 0
	s_waitcnt lgkmcnt(0)
	v_add_f32_e32 v17, v8, v17
.LBB0_74:                               ; =>This Inner Loop Header: Depth=1
	s_waitcnt vmcnt(0)
	v_add_f32_e32 v8, v9, v17
	global_atomic_cmpswap v8, v[0:1], v[8:9], off glc
	s_waitcnt vmcnt(0)
	v_cmp_eq_u32_e64 s[6:7], v8, v9
	s_or_b64 s[10:11], s[6:7], s[10:11]
	v_mov_b32_e32 v9, v8
	s_andn2_b64 exec, exec, s[10:11]
	s_cbranch_execnz .LBB0_74
; %bb.75:
	s_or_b64 exec, exec, s[10:11]
	v_add_f32_e32 v0, v26, v17
	v_cndmask_b32_e32 v26, v26, v0, vcc
.LBB0_76:
	s_or_b64 exec, exec, s[8:9]
	s_barrier
	ds_write2st64_b32 v30, v2, v10 offset1:1
	ds_write_b32 v30, v18 offset:512
	s_waitcnt lgkmcnt(0)
	s_barrier
	s_and_saveexec_b64 s[6:7], s[2:3]
	s_cbranch_execz .LBB0_78
; %bb.77:
	ds_read2_b32 v[0:1], v30 offset1:32
	ds_read2_b32 v[8:9], v30 offset0:64 offset1:96
	ds_read2_b32 v[28:29], v30 offset0:128 offset1:160
	s_waitcnt lgkmcnt(2)
	v_add_f32_e32 v0, v1, v0
	s_waitcnt lgkmcnt(1)
	v_add_f32_e32 v1, v9, v8
	;; [unrolled: 2-line block ×3, first 2 shown]
	ds_write2st64_b32 v30, v0, v1 offset1:1
	ds_write_b32 v30, v2 offset:512
.LBB0_78:
	s_or_b64 exec, exec, s[6:7]
	s_waitcnt lgkmcnt(0)
	s_barrier
	s_and_saveexec_b64 s[6:7], s[4:5]
	s_cbranch_execz .LBB0_80
; %bb.79:
	ds_read2_b32 v[0:1], v30 offset1:16
	ds_read2_b32 v[8:9], v30 offset0:64 offset1:80
	ds_read2_b32 v[28:29], v30 offset0:128 offset1:144
	s_waitcnt lgkmcnt(2)
	v_add_f32_e32 v0, v1, v0
	s_waitcnt lgkmcnt(1)
	v_add_f32_e32 v1, v9, v8
	s_waitcnt lgkmcnt(0)
	v_add_f32_e32 v2, v29, v28
	ds_write2st64_b32 v30, v0, v1 offset1:1
	ds_write_b32 v30, v2 offset:512
.LBB0_80:
	s_or_b64 exec, exec, s[6:7]
	s_waitcnt lgkmcnt(0)
	s_barrier
	s_and_saveexec_b64 s[8:9], s[0:1]
	s_cbranch_execz .LBB0_84
; %bb.81:
	v_add_u32_e32 v0, 16, v33
	v_mad_i64_i32 v[0:1], s[6:7], v0, 12, v[24:25]
	global_load_dword v9, v[0:1], off
	ds_read_b32 v2, v31 offset:1024
	ds_read_b32 v8, v32 offset:32
	s_mov_b64 s[10:11], 0
	s_waitcnt lgkmcnt(0)
	v_add_f32_e32 v2, v2, v8
.LBB0_82:                               ; =>This Inner Loop Header: Depth=1
	s_waitcnt vmcnt(0)
	v_add_f32_e32 v8, v9, v2
	global_atomic_cmpswap v8, v[0:1], v[8:9], off glc
	s_waitcnt vmcnt(0)
	v_cmp_eq_u32_e64 s[6:7], v8, v9
	s_or_b64 s[10:11], s[6:7], s[10:11]
	v_mov_b32_e32 v9, v8
	s_andn2_b64 exec, exec, s[10:11]
	s_cbranch_execnz .LBB0_82
; %bb.83:
	s_or_b64 exec, exec, s[10:11]
	v_add_f32_e32 v0, v26, v2
	v_cndmask_b32_e32 v26, v26, v0, vcc
.LBB0_84:
	s_or_b64 exec, exec, s[8:9]
	s_barrier
	ds_write2st64_b32 v30, v3, v11 offset1:1
	ds_write_b32 v30, v19 offset:512
	s_waitcnt lgkmcnt(0)
	s_barrier
	s_and_saveexec_b64 s[6:7], s[2:3]
	s_cbranch_execz .LBB0_86
; %bb.85:
	ds_read2_b32 v[0:1], v30 offset1:32
	ds_read2_b32 v[2:3], v30 offset0:64 offset1:96
	ds_read2_b32 v[8:9], v30 offset0:128 offset1:160
	s_waitcnt lgkmcnt(2)
	v_add_f32_e32 v0, v1, v0
	s_waitcnt lgkmcnt(1)
	v_add_f32_e32 v1, v3, v2
	s_waitcnt lgkmcnt(0)
	v_add_f32_e32 v2, v9, v8
	ds_write2st64_b32 v30, v0, v1 offset1:1
	ds_write_b32 v30, v2 offset:512
.LBB0_86:
	s_or_b64 exec, exec, s[6:7]
	s_waitcnt lgkmcnt(0)
	s_barrier
	s_and_saveexec_b64 s[6:7], s[4:5]
	s_cbranch_execz .LBB0_88
; %bb.87:
	ds_read2_b32 v[0:1], v30 offset1:16
	ds_read2_b32 v[2:3], v30 offset0:64 offset1:80
	ds_read2_b32 v[8:9], v30 offset0:128 offset1:144
	s_waitcnt lgkmcnt(2)
	v_add_f32_e32 v0, v1, v0
	s_waitcnt lgkmcnt(1)
	v_add_f32_e32 v1, v3, v2
	;; [unrolled: 2-line block ×3, first 2 shown]
	ds_write2st64_b32 v30, v0, v1 offset1:1
	ds_write_b32 v30, v2 offset:512
.LBB0_88:
	s_or_b64 exec, exec, s[6:7]
	s_waitcnt lgkmcnt(0)
	s_barrier
	s_and_saveexec_b64 s[8:9], s[0:1]
	s_cbranch_execz .LBB0_92
; %bb.89:
	v_add_u32_e32 v0, 24, v33
	v_mad_i64_i32 v[0:1], s[6:7], v0, 12, v[24:25]
	global_load_dword v3, v[0:1], off
	ds_read_b32 v2, v31 offset:1024
	ds_read_b32 v8, v32 offset:32
	s_mov_b64 s[10:11], 0
	s_waitcnt lgkmcnt(0)
	v_add_f32_e32 v8, v2, v8
.LBB0_90:                               ; =>This Inner Loop Header: Depth=1
	s_waitcnt vmcnt(0)
	v_add_f32_e32 v2, v3, v8
	global_atomic_cmpswap v2, v[0:1], v[2:3], off glc
	s_waitcnt vmcnt(0)
	v_cmp_eq_u32_e64 s[6:7], v2, v3
	s_or_b64 s[10:11], s[6:7], s[10:11]
	v_mov_b32_e32 v3, v2
	s_andn2_b64 exec, exec, s[10:11]
	s_cbranch_execnz .LBB0_90
; %bb.91:
	s_or_b64 exec, exec, s[10:11]
	v_add_f32_e32 v0, v26, v8
	v_cndmask_b32_e32 v26, v26, v0, vcc
.LBB0_92:
	s_or_b64 exec, exec, s[8:9]
	s_barrier
	ds_write2st64_b32 v30, v4, v12 offset1:1
	ds_write_b32 v30, v20 offset:512
	s_waitcnt lgkmcnt(0)
	s_barrier
	s_and_saveexec_b64 s[6:7], s[2:3]
	s_cbranch_execz .LBB0_94
; %bb.93:
	ds_read2_b32 v[0:1], v30 offset1:32
	ds_read2_b32 v[2:3], v30 offset0:64 offset1:96
	ds_read2_b32 v[8:9], v30 offset0:128 offset1:160
	s_waitcnt lgkmcnt(2)
	v_add_f32_e32 v0, v1, v0
	s_waitcnt lgkmcnt(1)
	v_add_f32_e32 v1, v3, v2
	;; [unrolled: 2-line block ×3, first 2 shown]
	ds_write2st64_b32 v30, v0, v1 offset1:1
	ds_write_b32 v30, v2 offset:512
.LBB0_94:
	s_or_b64 exec, exec, s[6:7]
	s_waitcnt lgkmcnt(0)
	s_barrier
	s_and_saveexec_b64 s[6:7], s[4:5]
	s_cbranch_execz .LBB0_96
; %bb.95:
	ds_read2_b32 v[0:1], v30 offset1:16
	ds_read2_b32 v[2:3], v30 offset0:64 offset1:80
	ds_read2_b32 v[8:9], v30 offset0:128 offset1:144
	s_waitcnt lgkmcnt(2)
	v_add_f32_e32 v0, v1, v0
	s_waitcnt lgkmcnt(1)
	v_add_f32_e32 v1, v3, v2
	;; [unrolled: 2-line block ×3, first 2 shown]
	ds_write2st64_b32 v30, v0, v1 offset1:1
	ds_write_b32 v30, v2 offset:512
.LBB0_96:
	s_or_b64 exec, exec, s[6:7]
	s_waitcnt lgkmcnt(0)
	s_barrier
	s_and_saveexec_b64 s[8:9], s[0:1]
	s_cbranch_execz .LBB0_100
; %bb.97:
	v_add_u32_e32 v0, 32, v33
	v_mad_i64_i32 v[0:1], s[6:7], v0, 12, v[24:25]
	global_load_dword v3, v[0:1], off
	ds_read_b32 v2, v31 offset:1024
	ds_read_b32 v4, v32 offset:32
	s_mov_b64 s[10:11], 0
	s_waitcnt lgkmcnt(0)
	v_add_f32_e32 v4, v2, v4
.LBB0_98:                               ; =>This Inner Loop Header: Depth=1
	s_waitcnt vmcnt(0)
	v_add_f32_e32 v2, v3, v4
	global_atomic_cmpswap v2, v[0:1], v[2:3], off glc
	s_waitcnt vmcnt(0)
	v_cmp_eq_u32_e64 s[6:7], v2, v3
	s_or_b64 s[10:11], s[6:7], s[10:11]
	v_mov_b32_e32 v3, v2
	s_andn2_b64 exec, exec, s[10:11]
	s_cbranch_execnz .LBB0_98
; %bb.99:
	s_or_b64 exec, exec, s[10:11]
	v_add_f32_e32 v0, v26, v4
	v_cndmask_b32_e32 v26, v26, v0, vcc
.LBB0_100:
	s_or_b64 exec, exec, s[8:9]
	s_barrier
	ds_write2st64_b32 v30, v5, v13 offset1:1
	ds_write_b32 v30, v21 offset:512
	s_waitcnt lgkmcnt(0)
	s_barrier
	s_and_saveexec_b64 s[6:7], s[2:3]
	s_cbranch_execz .LBB0_102
; %bb.101:
	ds_read2_b32 v[0:1], v30 offset1:32
	ds_read2_b32 v[2:3], v30 offset0:64 offset1:96
	ds_read2_b32 v[4:5], v30 offset0:128 offset1:160
	s_waitcnt lgkmcnt(2)
	v_add_f32_e32 v0, v1, v0
	s_waitcnt lgkmcnt(1)
	v_add_f32_e32 v1, v3, v2
	s_waitcnt lgkmcnt(0)
	v_add_f32_e32 v2, v5, v4
	ds_write2st64_b32 v30, v0, v1 offset1:1
	ds_write_b32 v30, v2 offset:512
.LBB0_102:
	s_or_b64 exec, exec, s[6:7]
	s_waitcnt lgkmcnt(0)
	s_barrier
	s_and_saveexec_b64 s[6:7], s[4:5]
	s_cbranch_execz .LBB0_104
; %bb.103:
	ds_read2_b32 v[0:1], v30 offset1:16
	ds_read2_b32 v[2:3], v30 offset0:64 offset1:80
	ds_read2_b32 v[4:5], v30 offset0:128 offset1:144
	s_waitcnt lgkmcnt(2)
	v_add_f32_e32 v0, v1, v0
	s_waitcnt lgkmcnt(1)
	v_add_f32_e32 v1, v3, v2
	;; [unrolled: 2-line block ×3, first 2 shown]
	ds_write2st64_b32 v30, v0, v1 offset1:1
	ds_write_b32 v30, v2 offset:512
.LBB0_104:
	s_or_b64 exec, exec, s[6:7]
	s_waitcnt lgkmcnt(0)
	s_barrier
	s_and_saveexec_b64 s[8:9], s[0:1]
	s_cbranch_execz .LBB0_108
; %bb.105:
	v_add_u32_e32 v0, 40, v33
	v_mad_i64_i32 v[0:1], s[6:7], v0, 12, v[24:25]
	global_load_dword v3, v[0:1], off
	ds_read_b32 v2, v31 offset:1024
	ds_read_b32 v4, v32 offset:32
	s_mov_b64 s[10:11], 0
	s_waitcnt lgkmcnt(0)
	v_add_f32_e32 v4, v2, v4
.LBB0_106:                              ; =>This Inner Loop Header: Depth=1
	s_waitcnt vmcnt(0)
	v_add_f32_e32 v2, v3, v4
	global_atomic_cmpswap v2, v[0:1], v[2:3], off glc
	s_waitcnt vmcnt(0)
	v_cmp_eq_u32_e64 s[6:7], v2, v3
	s_or_b64 s[10:11], s[6:7], s[10:11]
	v_mov_b32_e32 v3, v2
	s_andn2_b64 exec, exec, s[10:11]
	s_cbranch_execnz .LBB0_106
; %bb.107:
	s_or_b64 exec, exec, s[10:11]
	v_add_f32_e32 v0, v26, v4
	v_cndmask_b32_e32 v26, v26, v0, vcc
.LBB0_108:
	s_or_b64 exec, exec, s[8:9]
	s_barrier
	ds_write2st64_b32 v30, v6, v14 offset1:1
	ds_write_b32 v30, v22 offset:512
	s_waitcnt lgkmcnt(0)
	s_barrier
	s_and_saveexec_b64 s[6:7], s[2:3]
	s_cbranch_execz .LBB0_110
; %bb.109:
	ds_read2_b32 v[0:1], v30 offset1:32
	ds_read2_b32 v[2:3], v30 offset0:64 offset1:96
	ds_read2_b32 v[4:5], v30 offset0:128 offset1:160
	s_waitcnt lgkmcnt(2)
	v_add_f32_e32 v0, v1, v0
	s_waitcnt lgkmcnt(1)
	v_add_f32_e32 v1, v3, v2
	;; [unrolled: 2-line block ×3, first 2 shown]
	ds_write2st64_b32 v30, v0, v1 offset1:1
	ds_write_b32 v30, v2 offset:512
.LBB0_110:
	s_or_b64 exec, exec, s[6:7]
	s_waitcnt lgkmcnt(0)
	s_barrier
	s_and_saveexec_b64 s[6:7], s[4:5]
	s_cbranch_execz .LBB0_112
; %bb.111:
	ds_read2_b32 v[0:1], v30 offset1:16
	ds_read2_b32 v[2:3], v30 offset0:64 offset1:80
	ds_read2_b32 v[4:5], v30 offset0:128 offset1:144
	s_waitcnt lgkmcnt(2)
	v_add_f32_e32 v0, v1, v0
	s_waitcnt lgkmcnt(1)
	v_add_f32_e32 v1, v3, v2
	;; [unrolled: 2-line block ×3, first 2 shown]
	ds_write2st64_b32 v30, v0, v1 offset1:1
	ds_write_b32 v30, v2 offset:512
.LBB0_112:
	s_or_b64 exec, exec, s[6:7]
	s_waitcnt lgkmcnt(0)
	s_barrier
	s_and_saveexec_b64 s[8:9], s[0:1]
	s_cbranch_execz .LBB0_116
; %bb.113:
	v_add_u32_e32 v0, 48, v33
	v_mad_i64_i32 v[0:1], s[6:7], v0, 12, v[24:25]
	global_load_dword v3, v[0:1], off
	ds_read_b32 v2, v31 offset:1024
	ds_read_b32 v4, v32 offset:32
	s_mov_b64 s[10:11], 0
	s_waitcnt lgkmcnt(0)
	v_add_f32_e32 v4, v2, v4
.LBB0_114:                              ; =>This Inner Loop Header: Depth=1
	s_waitcnt vmcnt(0)
	v_add_f32_e32 v2, v3, v4
	global_atomic_cmpswap v2, v[0:1], v[2:3], off glc
	s_waitcnt vmcnt(0)
	v_cmp_eq_u32_e64 s[6:7], v2, v3
	s_or_b64 s[10:11], s[6:7], s[10:11]
	v_mov_b32_e32 v3, v2
	s_andn2_b64 exec, exec, s[10:11]
	s_cbranch_execnz .LBB0_114
; %bb.115:
	s_or_b64 exec, exec, s[10:11]
	v_add_f32_e32 v0, v26, v4
	v_cndmask_b32_e32 v26, v26, v0, vcc
.LBB0_116:
	s_or_b64 exec, exec, s[8:9]
	s_barrier
	ds_write2st64_b32 v30, v7, v15 offset1:1
	ds_write_b32 v30, v23 offset:512
	s_waitcnt lgkmcnt(0)
	s_barrier
	s_and_saveexec_b64 s[6:7], s[2:3]
	s_cbranch_execz .LBB0_118
; %bb.117:
	ds_read2_b32 v[0:1], v30 offset1:32
	ds_read2_b32 v[2:3], v30 offset0:64 offset1:96
	ds_read2_b32 v[4:5], v30 offset0:128 offset1:160
	s_waitcnt lgkmcnt(2)
	v_add_f32_e32 v0, v1, v0
	s_waitcnt lgkmcnt(1)
	v_add_f32_e32 v1, v3, v2
	;; [unrolled: 2-line block ×3, first 2 shown]
	ds_write2st64_b32 v30, v0, v1 offset1:1
	ds_write_b32 v30, v2 offset:512
.LBB0_118:
	s_or_b64 exec, exec, s[6:7]
	s_waitcnt lgkmcnt(0)
	s_barrier
	s_and_saveexec_b64 s[2:3], s[4:5]
	s_cbranch_execz .LBB0_120
; %bb.119:
	ds_read2_b32 v[0:1], v30 offset1:16
	ds_read2_b32 v[2:3], v30 offset0:64 offset1:80
	ds_read2_b32 v[4:5], v30 offset0:128 offset1:144
	s_waitcnt lgkmcnt(2)
	v_add_f32_e32 v0, v1, v0
	s_waitcnt lgkmcnt(1)
	v_add_f32_e32 v1, v3, v2
	;; [unrolled: 2-line block ×3, first 2 shown]
	ds_write2st64_b32 v30, v0, v1 offset1:1
	ds_write_b32 v30, v2 offset:512
.LBB0_120:
	s_or_b64 exec, exec, s[2:3]
	s_waitcnt lgkmcnt(0)
	s_barrier
	s_and_saveexec_b64 s[4:5], s[0:1]
	s_cbranch_execz .LBB0_124
; %bb.121:
	v_add_u32_e32 v0, 56, v33
	v_mad_i64_i32 v[0:1], s[2:3], v0, 12, v[24:25]
	global_load_dword v3, v[0:1], off
	ds_read_b32 v2, v31 offset:1024
	ds_read_b32 v4, v32 offset:32
	s_mov_b64 s[6:7], 0
	s_waitcnt lgkmcnt(0)
	v_add_f32_e32 v4, v2, v4
.LBB0_122:                              ; =>This Inner Loop Header: Depth=1
	s_waitcnt vmcnt(0)
	v_add_f32_e32 v2, v3, v4
	global_atomic_cmpswap v2, v[0:1], v[2:3], off glc
	s_waitcnt vmcnt(0)
	v_cmp_eq_u32_e64 s[2:3], v2, v3
	s_or_b64 s[6:7], s[2:3], s[6:7]
	v_mov_b32_e32 v3, v2
	s_andn2_b64 exec, exec, s[6:7]
	s_cbranch_execnz .LBB0_122
; %bb.123:
	s_or_b64 exec, exec, s[6:7]
	v_add_f32_e32 v0, v26, v4
	v_cndmask_b32_e32 v26, v26, v0, vcc
.LBB0_124:
	s_or_b64 exec, exec, s[4:5]
	s_and_b64 s[0:1], s[0:1], vcc
	s_barrier
	s_and_saveexec_b64 s[2:3], s[0:1]
	s_cbranch_execz .LBB0_127
; %bb.125:
	s_add_u32 s0, s14, s46
	s_addc_u32 s1, s15, s33
	global_load_dword v3, v16, s[0:1]
	v_mov_b32_e32 v1, s1
	v_add_co_u32_e32 v0, vcc, s0, v16
	v_addc_co_u32_e32 v1, vcc, 0, v1, vcc
	s_mov_b64 s[0:1], 0
.LBB0_126:                              ; =>This Inner Loop Header: Depth=1
	s_waitcnt vmcnt(0)
	v_add_f32_e32 v2, v3, v26
	global_atomic_cmpswap v2, v[0:1], v[2:3], off glc
	s_waitcnt vmcnt(0)
	v_cmp_eq_u32_e32 vcc, v2, v3
	s_or_b64 s[0:1], vcc, s[0:1]
	v_mov_b32_e32 v3, v2
	s_andn2_b64 exec, exec, s[0:1]
	s_cbranch_execnz .LBB0_126
.LBB0_127:
	s_endpgm
	.section	.rodata,"a",@progbits
	.p2align	6, 0x0
	.amdhsa_kernel _Z15nbnxmKernelTestPK15HIP_vector_typeIfLj4EEPN3gmx11BasicVectorIfEES6_S6_P11nbnxn_cj4_tPK9nbnxn_sciPK12nbnxn_excl_tPKiPKS_IfLj2EEifffb
		.amdhsa_group_segment_fixed_size 2048
		.amdhsa_private_segment_fixed_size 0
		.amdhsa_kernarg_size 92
		.amdhsa_user_sgpr_count 6
		.amdhsa_user_sgpr_private_segment_buffer 1
		.amdhsa_user_sgpr_dispatch_ptr 0
		.amdhsa_user_sgpr_queue_ptr 0
		.amdhsa_user_sgpr_kernarg_segment_ptr 1
		.amdhsa_user_sgpr_dispatch_id 0
		.amdhsa_user_sgpr_flat_scratch_init 0
		.amdhsa_user_sgpr_kernarg_preload_length 0
		.amdhsa_user_sgpr_kernarg_preload_offset 0
		.amdhsa_user_sgpr_private_segment_size 0
		.amdhsa_uses_dynamic_stack 0
		.amdhsa_system_sgpr_private_segment_wavefront_offset 0
		.amdhsa_system_sgpr_workgroup_id_x 1
		.amdhsa_system_sgpr_workgroup_id_y 0
		.amdhsa_system_sgpr_workgroup_id_z 1
		.amdhsa_system_sgpr_workgroup_info 0
		.amdhsa_system_vgpr_workitem_id 1
		.amdhsa_next_free_vgpr 71
		.amdhsa_next_free_sgpr 60
		.amdhsa_accum_offset 72
		.amdhsa_reserve_vcc 1
		.amdhsa_reserve_flat_scratch 0
		.amdhsa_float_round_mode_32 0
		.amdhsa_float_round_mode_16_64 0
		.amdhsa_float_denorm_mode_32 3
		.amdhsa_float_denorm_mode_16_64 3
		.amdhsa_dx10_clamp 1
		.amdhsa_ieee_mode 1
		.amdhsa_fp16_overflow 0
		.amdhsa_tg_split 0
		.amdhsa_exception_fp_ieee_invalid_op 0
		.amdhsa_exception_fp_denorm_src 0
		.amdhsa_exception_fp_ieee_div_zero 0
		.amdhsa_exception_fp_ieee_overflow 0
		.amdhsa_exception_fp_ieee_underflow 0
		.amdhsa_exception_fp_ieee_inexact 0
		.amdhsa_exception_int_div_zero 0
	.end_amdhsa_kernel
	.text
.Lfunc_end0:
	.size	_Z15nbnxmKernelTestPK15HIP_vector_typeIfLj4EEPN3gmx11BasicVectorIfEES6_S6_P11nbnxn_cj4_tPK9nbnxn_sciPK12nbnxn_excl_tPKiPKS_IfLj2EEifffb, .Lfunc_end0-_Z15nbnxmKernelTestPK15HIP_vector_typeIfLj4EEPN3gmx11BasicVectorIfEES6_S6_P11nbnxn_cj4_tPK9nbnxn_sciPK12nbnxn_excl_tPKiPKS_IfLj2EEifffb
                                        ; -- End function
	.section	.AMDGPU.csdata,"",@progbits
; Kernel info:
; codeLenInByte = 7828
; NumSgprs: 64
; NumVgprs: 71
; NumAgprs: 0
; TotalNumVgprs: 71
; ScratchSize: 0
; MemoryBound: 0
; FloatMode: 240
; IeeeMode: 1
; LDSByteSize: 2048 bytes/workgroup (compile time only)
; SGPRBlocks: 7
; VGPRBlocks: 8
; NumSGPRsForWavesPerEU: 64
; NumVGPRsForWavesPerEU: 71
; AccumOffset: 72
; Occupancy: 7
; WaveLimiterHint : 1
; COMPUTE_PGM_RSRC2:SCRATCH_EN: 0
; COMPUTE_PGM_RSRC2:USER_SGPR: 6
; COMPUTE_PGM_RSRC2:TRAP_HANDLER: 0
; COMPUTE_PGM_RSRC2:TGID_X_EN: 1
; COMPUTE_PGM_RSRC2:TGID_Y_EN: 0
; COMPUTE_PGM_RSRC2:TGID_Z_EN: 1
; COMPUTE_PGM_RSRC2:TIDIG_COMP_CNT: 1
; COMPUTE_PGM_RSRC3_GFX90A:ACCUM_OFFSET: 17
; COMPUTE_PGM_RSRC3_GFX90A:TG_SPLIT: 0
	.text
	.p2alignl 6, 3212836864
	.fill 256, 4, 3212836864
	.type	__hip_cuid_5e38b0790392e4f1,@object ; @__hip_cuid_5e38b0790392e4f1
	.section	.bss,"aw",@nobits
	.globl	__hip_cuid_5e38b0790392e4f1
__hip_cuid_5e38b0790392e4f1:
	.byte	0                               ; 0x0
	.size	__hip_cuid_5e38b0790392e4f1, 1

	.ident	"AMD clang version 19.0.0git (https://github.com/RadeonOpenCompute/llvm-project roc-6.4.0 25133 c7fe45cf4b819c5991fe208aaa96edf142730f1d)"
	.section	".note.GNU-stack","",@progbits
	.addrsig
	.addrsig_sym __hip_cuid_5e38b0790392e4f1
	.amdgpu_metadata
---
amdhsa.kernels:
  - .agpr_count:     0
    .args:
      - .actual_access:  read_only
        .address_space:  global
        .offset:         0
        .size:           8
        .value_kind:     global_buffer
      - .address_space:  global
        .offset:         8
        .size:           8
        .value_kind:     global_buffer
      - .actual_access:  read_only
        .address_space:  global
        .offset:         16
        .size:           8
        .value_kind:     global_buffer
      - .address_space:  global
        .offset:         24
        .size:           8
        .value_kind:     global_buffer
      - .actual_access:  read_only
        .address_space:  global
        .offset:         32
        .size:           8
        .value_kind:     global_buffer
      - .actual_access:  read_only
        .address_space:  global
        .offset:         40
        .size:           8
        .value_kind:     global_buffer
      - .actual_access:  read_only
        .address_space:  global
        .offset:         48
        .size:           8
        .value_kind:     global_buffer
      - .actual_access:  read_only
        .address_space:  global
        .offset:         56
        .size:           8
        .value_kind:     global_buffer
      - .actual_access:  read_only
        .address_space:  global
        .offset:         64
        .size:           8
        .value_kind:     global_buffer
      - .offset:         72
        .size:           4
        .value_kind:     by_value
      - .offset:         76
        .size:           4
        .value_kind:     by_value
      - .offset:         80
        .size:           4
        .value_kind:     by_value
      - .offset:         84
        .size:           4
        .value_kind:     by_value
      - .offset:         88
        .size:           1
        .value_kind:     by_value
    .group_segment_fixed_size: 2048
    .kernarg_segment_align: 8
    .kernarg_segment_size: 92
    .language:       OpenCL C
    .language_version:
      - 2
      - 0
    .max_flat_workgroup_size: 1024
    .name:           _Z15nbnxmKernelTestPK15HIP_vector_typeIfLj4EEPN3gmx11BasicVectorIfEES6_S6_P11nbnxn_cj4_tPK9nbnxn_sciPK12nbnxn_excl_tPKiPKS_IfLj2EEifffb
    .private_segment_fixed_size: 0
    .sgpr_count:     64
    .sgpr_spill_count: 0
    .symbol:         _Z15nbnxmKernelTestPK15HIP_vector_typeIfLj4EEPN3gmx11BasicVectorIfEES6_S6_P11nbnxn_cj4_tPK9nbnxn_sciPK12nbnxn_excl_tPKiPKS_IfLj2EEifffb.kd
    .uniform_work_group_size: 1
    .uses_dynamic_stack: false
    .vgpr_count:     71
    .vgpr_spill_count: 0
    .wavefront_size: 64
amdhsa.target:   amdgcn-amd-amdhsa--gfx90a
amdhsa.version:
  - 1
  - 2
...

	.end_amdgpu_metadata
